;; amdgpu-corpus repo=ROCm/rocFFT kind=compiled arch=gfx906 opt=O3
	.text
	.amdgcn_target "amdgcn-amd-amdhsa--gfx906"
	.amdhsa_code_object_version 6
	.protected	fft_rtc_fwd_len125_factors_5_5_5_wgs_250_tpt_25_dim3_dp_op_CI_CI_sbrc_unaligned_dirReg ; -- Begin function fft_rtc_fwd_len125_factors_5_5_5_wgs_250_tpt_25_dim3_dp_op_CI_CI_sbrc_unaligned_dirReg
	.globl	fft_rtc_fwd_len125_factors_5_5_5_wgs_250_tpt_25_dim3_dp_op_CI_CI_sbrc_unaligned_dirReg
	.p2align	8
	.type	fft_rtc_fwd_len125_factors_5_5_5_wgs_250_tpt_25_dim3_dp_op_CI_CI_sbrc_unaligned_dirReg,@function
fft_rtc_fwd_len125_factors_5_5_5_wgs_250_tpt_25_dim3_dp_op_CI_CI_sbrc_unaligned_dirReg: ; @fft_rtc_fwd_len125_factors_5_5_5_wgs_250_tpt_25_dim3_dp_op_CI_CI_sbrc_unaligned_dirReg
; %bb.0:
	s_load_dwordx4 s[20:23], s[4:5], 0x8
	s_load_dwordx2 s[28:29], s[4:5], 0x18
	s_load_dwordx2 s[26:27], s[4:5], 0x50
	s_mov_b32 s31, 0
	s_waitcnt lgkmcnt(0)
	s_load_dwordx4 s[0:3], s[20:21], 0x8
	s_load_dwordx4 s[16:19], s[22:23], 0x0
	s_waitcnt lgkmcnt(0)
	s_add_i32 s1, s0, -1
	s_mul_hi_u32 s1, s1, 0xcccccccd
	s_lshr_b32 s1, s1, 3
	s_add_i32 s1, s1, 1
	v_cvt_f32_u32_e32 v1, s1
	v_rcp_iflag_f32_e32 v1, v1
	v_mul_f32_e32 v1, 0x4f7ffffe, v1
	v_cvt_u32_f32_e32 v3, v1
	v_mov_b32_e32 v1, s2
	v_mov_b32_e32 v2, s3
	s_sub_i32 s3, 0, s1
	v_readfirstlane_b32 s7, v3
	s_mul_i32 s3, s3, s7
	s_mul_hi_u32 s3, s7, s3
	s_add_i32 s7, s7, s3
	s_mul_hi_u32 s3, s6, s7
	s_mul_i32 s7, s3, s1
	s_sub_i32 s7, s6, s7
	s_add_i32 s8, s3, 1
	s_sub_i32 s9, s7, s1
	s_cmp_ge_u32 s7, s1
	s_cselect_b32 s3, s8, s3
	s_cselect_b32 s7, s9, s7
	s_add_i32 s8, s3, 1
	s_cmp_ge_u32 s7, s1
	s_cselect_b32 s30, s8, s3
	v_cmp_lt_u64_e32 vcc, s[30:31], v[1:2]
	s_mov_b64 s[20:21], s[30:31]
	s_cbranch_vccnz .LBB0_2
; %bb.1:
	v_cvt_f32_u32_e32 v1, s2
	s_sub_i32 s3, 0, s2
	v_rcp_iflag_f32_e32 v1, v1
	v_mul_f32_e32 v1, 0x4f7ffffe, v1
	v_cvt_u32_f32_e32 v1, v1
	v_readfirstlane_b32 s7, v1
	s_mul_i32 s3, s3, s7
	s_mul_hi_u32 s3, s7, s3
	s_add_i32 s7, s7, s3
	s_mul_hi_u32 s3, s30, s7
	s_mul_i32 s3, s3, s2
	s_sub_i32 s3, s30, s3
	s_sub_i32 s7, s3, s2
	s_cmp_ge_u32 s3, s2
	s_cselect_b32 s3, s7, s3
	s_sub_i32 s7, s3, s2
	s_cmp_ge_u32 s3, s2
	s_cselect_b32 s20, s7, s3
.LBB0_2:
	s_mul_i32 s3, s30, s1
	s_mul_i32 s1, s1, s2
	v_cvt_f32_u32_e32 v1, s1
	s_load_dwordx2 s[24:25], s[4:5], 0x0
	s_load_dwordx8 s[8:15], s[28:29], 0x0
	s_waitcnt lgkmcnt(0)
	s_sub_i32 s11, s6, s3
	s_load_dwordx4 s[28:31], s[22:23], 0x10
	v_rcp_iflag_f32_e32 v1, v1
	s_mul_i32 s11, s11, 10
	s_mul_i32 s2, s11, s18
	s_mov_b64 s[22:23], -1
	v_mul_f32_e32 v1, 0x4f7ffffe, v1
	v_cvt_u32_f32_e32 v1, v1
	s_waitcnt lgkmcnt(0)
	s_mul_i32 s3, s29, s20
	s_mul_hi_u32 s7, s28, s20
	s_add_i32 s7, s7, s3
	s_mul_i32 s3, s28, s20
	s_add_u32 s2, s3, s2
	s_addc_u32 s3, s7, 0
	s_sub_i32 s7, 0, s1
	v_readfirstlane_b32 s19, v1
	s_mul_i32 s7, s7, s19
	s_mul_hi_u32 s7, s19, s7
	s_add_i32 s19, s19, s7
	s_mul_hi_u32 s7, s6, s19
	s_mul_i32 s19, s7, s1
	s_sub_i32 s6, s6, s19
	s_add_i32 s19, s7, 1
	s_sub_i32 s21, s6, s1
	s_cmp_ge_u32 s6, s1
	s_cselect_b32 s7, s19, s7
	s_cselect_b32 s6, s21, s6
	s_add_i32 s19, s7, 1
	s_cmp_ge_u32 s6, s1
	s_cselect_b32 s21, s19, s7
	s_mul_i32 s1, s31, s21
	s_mul_hi_u32 s6, s30, s21
	s_add_i32 s1, s6, s1
	s_mul_i32 s6, s30, s21
	s_add_u32 s6, s6, s2
	s_addc_u32 s7, s1, s3
	s_add_i32 s1, s11, 10
	v_mul_u32_u24_e32 v1, 0x20d, v0
	s_cmp_le_u32 s1, s0
	v_lshrrev_b32_e32 v3, 16, v1
	s_cselect_b64 s[2:3], -1, 0
	v_mul_lo_u16_e32 v1, 0x7d, v3
	v_sub_u16_e32 v4, v0, v1
	s_and_b64 vcc, exec, s[2:3]
	s_cbranch_vccnz .LBB0_7
; %bb.3:
	v_add_u32_e32 v5, s11, v3
	v_cmp_gt_u32_e32 vcc, s0, v5
	s_and_saveexec_b64 s[22:23], vcc
	s_cbranch_execz .LBB0_6
; %bb.4:
	v_mad_u64_u32 v[1:2], s[28:29], s16, v4, 0
	s_lshl_b64 s[28:29], s[6:7], 4
	s_add_u32 s1, s26, s28
	v_mad_u64_u32 v[6:7], s[30:31], s17, v4, v[2:3]
	s_addc_u32 s19, s27, s29
	v_mov_b32_e32 v7, s19
	v_mov_b32_e32 v2, v6
	v_lshlrev_b64 v[1:2], 4, v[1:2]
	s_mov_b64 s[28:29], 0
	v_add_co_u32_e32 v6, vcc, s1, v1
	v_addc_co_u32_e32 v7, vcc, v7, v2, vcc
	v_mul_u32_u24_e32 v1, 0xa0, v4
	v_lshlrev_b32_e32 v2, 4, v3
	v_add3_u32 v8, v1, v2, 0
	v_mul_lo_u32 v1, v3, s18
	s_lshl_b32 s1, s18, 1
	v_mov_b32_e32 v2, 0
.LBB0_5:                                ; =>This Inner Loop Header: Depth=1
	v_lshlrev_b64 v[9:10], 4, v[1:2]
	v_add_u32_e32 v5, 2, v5
	v_add_co_u32_e32 v9, vcc, v6, v9
	v_addc_co_u32_e32 v10, vcc, v7, v10, vcc
	global_load_dwordx4 v[9:12], v[9:10], off
	v_cmp_le_u32_e32 vcc, s0, v5
	v_add_u32_e32 v1, s1, v1
	s_or_b64 s[28:29], vcc, s[28:29]
	s_waitcnt vmcnt(0)
	ds_write_b128 v8, v[9:12]
	v_add_u32_e32 v8, 32, v8
	s_andn2_b64 exec, exec, s[28:29]
	s_cbranch_execnz .LBB0_5
.LBB0_6:
	s_or_b64 exec, exec, s[22:23]
	s_mov_b64 s[22:23], 0
.LBB0_7:
	s_andn2_b64 vcc, exec, s[22:23]
	s_cbranch_vccnz .LBB0_9
; %bb.8:
	v_mad_u64_u32 v[1:2], s[22:23], s16, v4, 0
	v_mul_lo_u32 v5, s18, v3
	s_lshl_b64 s[6:7], s[6:7], 4
	v_mad_u64_u32 v[7:8], s[16:17], s17, v4, v[2:3]
	s_add_u32 s1, s26, s6
	s_addc_u32 s6, s27, s7
	v_mov_b32_e32 v2, v7
	v_lshlrev_b64 v[1:2], 4, v[1:2]
	v_mov_b32_e32 v6, 0
	v_mov_b32_e32 v7, s6
	v_add_co_u32_e32 v13, vcc, s1, v1
	v_addc_co_u32_e32 v14, vcc, v7, v2, vcc
	v_lshlrev_b64 v[1:2], 4, v[5:6]
	s_lshl_b32 s1, s18, 1
	v_add_u32_e32 v5, s1, v5
	v_add_co_u32_e32 v1, vcc, v13, v1
	v_lshlrev_b64 v[7:8], 4, v[5:6]
	v_addc_co_u32_e32 v2, vcc, v14, v2, vcc
	v_add_u32_e32 v5, s1, v5
	v_lshlrev_b64 v[9:10], 4, v[5:6]
	v_add_co_u32_e32 v25, vcc, v13, v7
	v_add_u32_e32 v5, s1, v5
	v_addc_co_u32_e32 v26, vcc, v14, v8, vcc
	v_lshlrev_b64 v[11:12], 4, v[5:6]
	v_add_co_u32_e32 v27, vcc, v13, v9
	v_add_u32_e32 v5, s1, v5
	v_addc_co_u32_e32 v28, vcc, v14, v10, vcc
	v_lshlrev_b64 v[5:6], 4, v[5:6]
	v_add_co_u32_e32 v29, vcc, v13, v11
	v_addc_co_u32_e32 v30, vcc, v14, v12, vcc
	v_add_co_u32_e32 v31, vcc, v13, v5
	v_addc_co_u32_e32 v32, vcc, v14, v6, vcc
	global_load_dwordx4 v[5:8], v[1:2], off
	global_load_dwordx4 v[9:12], v[25:26], off
	;; [unrolled: 1-line block ×5, first 2 shown]
	v_mul_u32_u24_e32 v1, 0xa0, v4
	v_lshlrev_b32_e32 v2, 4, v3
	v_add3_u32 v1, 0, v1, v2
	s_waitcnt vmcnt(4)
	ds_write_b128 v1, v[5:8]
	s_waitcnt vmcnt(3)
	ds_write_b128 v1, v[9:12] offset:32
	s_waitcnt vmcnt(2)
	ds_write_b128 v1, v[13:16] offset:64
	;; [unrolled: 2-line block ×4, first 2 shown]
.LBB0_9:
	s_movk_i32 s1, 0x199a
	v_mul_u32_u24_sdwa v1, v0, s1 dst_sel:DWORD dst_unused:UNUSED_PAD src0_sel:WORD_0 src1_sel:DWORD
	s_mov_b32 s1, 0x1999999a
	v_mul_hi_u32 v3, v0, s1
	v_mov_b32_e32 v2, 10
	v_mul_lo_u16_sdwa v1, v1, v2 dst_sel:DWORD dst_unused:UNUSED_PAD src0_sel:WORD_1 src1_sel:DWORD
	v_sub_u16_e32 v1, v0, v1
	v_mul_u32_u24_e32 v2, 0xa0, v3
	v_lshlrev_b32_e32 v4, 4, v1
	v_add3_u32 v2, 0, v2, v4
	s_waitcnt lgkmcnt(0)
	s_barrier
	ds_read_b128 v[5:8], v2
	ds_read_b128 v[9:12], v2 offset:4000
	ds_read_b128 v[13:16], v2 offset:8000
	;; [unrolled: 1-line block ×3, first 2 shown]
	s_mov_b32 s6, 0x134454ff
	s_mov_b32 s7, 0x3fee6f0e
	s_mov_b32 s17, 0xbfee6f0e
	s_waitcnt lgkmcnt(2)
	v_add_f64 v[21:22], v[5:6], v[9:10]
	v_add_f64 v[23:24], v[7:8], v[11:12]
	s_waitcnt lgkmcnt(0)
	v_add_f64 v[29:30], v[13:14], v[17:18]
	v_add_f64 v[37:38], v[15:16], v[19:20]
	v_add_f64 v[33:34], v[9:10], -v[13:14]
	v_add_f64 v[35:36], v[13:14], -v[9:10]
	v_add_f64 v[39:40], v[13:14], -v[17:18]
	v_add_f64 v[41:42], v[11:12], -v[15:16]
	v_add_f64 v[25:26], v[21:22], v[13:14]
	v_add_f64 v[27:28], v[23:24], v[15:16]
	ds_read_b128 v[21:24], v2 offset:16000
	v_add_f64 v[43:44], v[15:16], -v[11:12]
	v_add_f64 v[31:32], v[15:16], -v[19:20]
	s_mov_b32 s16, s6
	s_mov_b32 s18, 0x4755a5e
	s_waitcnt lgkmcnt(0)
	v_add_f64 v[45:46], v[11:12], -v[23:24]
	v_add_f64 v[25:26], v[25:26], v[17:18]
	v_add_f64 v[27:28], v[27:28], v[19:20]
	;; [unrolled: 1-line block ×3, first 2 shown]
	v_add_f64 v[9:10], v[9:10], -v[21:22]
	v_add_f64 v[11:12], v[11:12], v[23:24]
	s_mov_b32 s19, 0x3fe2cf23
	s_mov_b32 s23, 0xbfe2cf23
	s_mov_b32 s22, s18
	v_add_f64 v[13:14], v[25:26], v[21:22]
	v_add_f64 v[25:26], v[21:22], -v[17:18]
	v_add_f64 v[17:18], v[17:18], -v[21:22]
	v_fma_f64 v[21:22], v[29:30], -0.5, v[5:6]
	v_add_f64 v[15:16], v[27:28], v[23:24]
	v_add_f64 v[27:28], v[23:24], -v[19:20]
	v_add_f64 v[19:20], v[19:20], -v[23:24]
	v_fma_f64 v[23:24], v[37:38], -0.5, v[7:8]
	v_fma_f64 v[5:6], v[47:48], -0.5, v[5:6]
	;; [unrolled: 1-line block ×3, first 2 shown]
	v_add_f64 v[11:12], v[33:34], v[25:26]
	v_fma_f64 v[25:26], v[45:46], s[6:7], v[21:22]
	v_fma_f64 v[21:22], v[45:46], s[16:17], v[21:22]
	v_add_f64 v[27:28], v[41:42], v[27:28]
	v_add_f64 v[35:36], v[35:36], v[17:18]
	v_fma_f64 v[29:30], v[9:10], s[16:17], v[23:24]
	v_fma_f64 v[33:34], v[31:32], s[16:17], v[5:6]
	;; [unrolled: 1-line block ×9, first 2 shown]
	v_add_f64 v[37:38], v[43:44], v[19:20]
	v_fma_f64 v[17:18], v[45:46], s[18:19], v[33:34]
	v_fma_f64 v[23:24], v[39:40], s[18:19], v[23:24]
	s_mov_b32 s26, 0x372fe950
	s_mov_b32 s27, 0x3fd3c6ef
	v_fma_f64 v[19:20], v[9:10], s[22:23], v[31:32]
	v_fma_f64 v[31:32], v[45:46], s[22:23], v[5:6]
	;; [unrolled: 1-line block ×11, first 2 shown]
	s_movk_i32 s1, 0x280
	v_mad_u32_u24 v25, v3, s1, v2
	s_mov_b32 s1, 0x33333334
	s_barrier
	ds_write_b128 v25, v[13:16]
	ds_write_b128 v25, v[5:8] offset:160
	ds_write_b128 v25, v[17:20] offset:320
	ds_write_b128 v25, v[21:24] offset:480
	ds_write_b128 v25, v[9:12] offset:640
	v_mul_hi_u32 v5, v3, s1
	s_waitcnt lgkmcnt(0)
	s_barrier
	v_mul_u32_u24_e32 v5, 5, v5
	v_sub_u32_e32 v57, v3, v5
	v_lshlrev_b32_e32 v21, 6, v57
	global_load_dwordx4 v[5:8], v21, s[24:25]
	global_load_dwordx4 v[9:12], v21, s[24:25] offset:16
	global_load_dwordx4 v[13:16], v21, s[24:25] offset:32
	;; [unrolled: 1-line block ×3, first 2 shown]
	ds_read_b128 v[21:24], v2 offset:4000
	ds_read_b128 v[25:28], v2 offset:8000
	;; [unrolled: 1-line block ×4, first 2 shown]
	ds_read_b128 v[37:40], v2
	s_mov_b32 s1, 0x51eb852
	s_waitcnt vmcnt(0) lgkmcnt(0)
	s_barrier
	v_mul_f64 v[41:42], v[23:24], v[7:8]
	v_mul_f64 v[7:8], v[21:22], v[7:8]
	;; [unrolled: 1-line block ×8, first 2 shown]
	v_fma_f64 v[21:22], v[21:22], v[5:6], -v[41:42]
	v_fma_f64 v[5:6], v[23:24], v[5:6], v[7:8]
	v_fma_f64 v[7:8], v[25:26], v[9:10], -v[43:44]
	v_fma_f64 v[9:10], v[27:28], v[9:10], v[11:12]
	;; [unrolled: 2-line block ×4, first 2 shown]
	v_add_f64 v[31:32], v[37:38], v[21:22]
	v_add_f64 v[29:30], v[39:40], v[5:6]
	v_add_f64 v[47:48], v[21:22], -v[7:8]
	v_add_f64 v[33:34], v[5:6], -v[9:10]
	v_add_f64 v[19:20], v[7:8], v[11:12]
	v_add_f64 v[23:24], v[9:10], v[13:14]
	;; [unrolled: 1-line block ×4, first 2 shown]
	v_add_f64 v[35:36], v[5:6], -v[17:18]
	v_add_f64 v[5:6], v[9:10], -v[5:6]
	;; [unrolled: 1-line block ×8, first 2 shown]
	v_fma_f64 v[19:20], v[19:20], -0.5, v[37:38]
	v_fma_f64 v[23:24], v[23:24], -0.5, v[39:40]
	v_add_f64 v[9:10], v[29:30], v[9:10]
	v_add_f64 v[7:8], v[31:32], v[7:8]
	v_fma_f64 v[25:26], v[25:26], -0.5, v[37:38]
	v_fma_f64 v[27:28], v[27:28], -0.5, v[39:40]
	v_add_f64 v[51:52], v[15:16], -v[11:12]
	v_add_f64 v[53:54], v[11:12], -v[15:16]
	v_add_f64 v[31:32], v[33:34], v[43:44]
	v_add_f64 v[33:34], v[5:6], v[45:46]
	v_add_f64 v[5:6], v[9:10], v[13:14]
	v_add_f64 v[9:10], v[7:8], v[11:12]
	v_fma_f64 v[11:12], v[35:36], s[6:7], v[19:20]
	v_fma_f64 v[37:38], v[49:50], s[16:17], v[23:24]
	;; [unrolled: 1-line block ×8, first 2 shown]
	v_add_f64 v[29:30], v[47:48], v[51:52]
	v_add_f64 v[7:8], v[5:6], v[17:18]
	;; [unrolled: 1-line block ×3, first 2 shown]
	v_fma_f64 v[9:10], v[41:42], s[18:19], v[11:12]
	v_fma_f64 v[11:12], v[55:56], s[22:23], v[37:38]
	v_add_f64 v[21:22], v[21:22], v[53:54]
	v_fma_f64 v[17:18], v[35:36], s[18:19], v[19:20]
	v_fma_f64 v[19:20], v[49:50], s[22:23], v[39:40]
	;; [unrolled: 1-line block ×8, first 2 shown]
	v_mul_hi_u32 v27, v0, s1
	v_fma_f64 v[17:18], v[21:22], s[26:27], v[17:18]
	v_fma_f64 v[19:20], v[33:34], s[26:27], v[19:20]
	;; [unrolled: 1-line block ×6, first 2 shown]
	v_mad_u32_u24 v25, v27, 25, v57
	v_mul_i32_i24_e32 v25, 0xa0, v25
	v_add3_u32 v4, 0, v25, v4
	ds_write_b128 v4, v[5:8]
	ds_write_b128 v4, v[9:12] offset:800
	ds_write_b128 v4, v[17:20] offset:1600
	;; [unrolled: 1-line block ×4, first 2 shown]
	v_add_u32_e32 v4, s11, v1
	v_cmp_gt_u32_e32 vcc, s0, v4
	s_or_b64 s[0:1], s[2:3], vcc
	s_waitcnt lgkmcnt(0)
	s_barrier
	s_and_saveexec_b64 s[2:3], s[0:1]
	s_cbranch_execz .LBB0_11
; %bb.10:
	s_mov_b32 s0, 0xa3d70a4
	v_mul_hi_u32 v4, v3, s0
	s_load_dwordx2 s[0:1], s[4:5], 0x58
	s_mul_i32 s3, s13, s20
	s_mul_hi_u32 s5, s12, s20
	v_mul_u32_u24_e32 v4, 25, v4
	v_sub_u32_e32 v41, v3, v4
	v_lshlrev_b32_e32 v19, 6, v41
	global_load_dwordx4 v[3:6], v19, s[24:25] offset:320
	global_load_dwordx4 v[7:10], v19, s[24:25] offset:336
	global_load_dwordx4 v[11:14], v19, s[24:25] offset:352
	global_load_dwordx4 v[15:18], v19, s[24:25] offset:368
	s_mul_i32 s2, s12, s20
	s_mul_i32 s13, s15, s21
	s_mul_hi_u32 s20, s14, s21
	s_mul_i32 s12, s14, s21
	v_mad_u64_u32 v[39:40], s[14:15], s8, v1, 0
	s_mul_hi_u32 s24, s8, s11
	s_mul_i32 s4, s8, s11
	s_mov_b32 s8, 0x10624de
	s_mul_i32 s21, s9, s11
	ds_read_b128 v[19:22], v2 offset:8000
	ds_read_b128 v[23:26], v2 offset:12000
	;; [unrolled: 1-line block ×4, first 2 shown]
	ds_read_b128 v[35:38], v2
	s_add_i32 s13, s20, s13
	v_mul_hi_u32 v2, v0, s8
	v_mov_b32_e32 v0, v40
	s_add_i32 s3, s5, s3
	s_add_i32 s5, s24, s21
	s_lshl_b64 s[12:13], s[12:13], 4
	v_mad_u64_u32 v[0:1], s[8:9], s9, v1, v[0:1]
	s_waitcnt lgkmcnt(0)
	s_add_u32 s8, s0, s12
	s_movk_i32 s11, 0x7d
	s_addc_u32 s9, s1, s13
	s_lshl_b64 s[0:1], s[2:3], 4
	v_mad_u32_u24 v1, v2, s11, v41
	s_add_u32 s2, s8, s0
	v_mul_lo_u32 v41, v1, s10
	s_addc_u32 s3, s9, s1
	s_lshl_b64 s[0:1], s[4:5], 4
	v_mov_b32_e32 v40, v0
	s_add_u32 s0, s2, s0
	v_lshlrev_b64 v[0:1], 4, v[39:40]
	s_addc_u32 s1, s3, s1
	v_mov_b32_e32 v42, 0
	v_mov_b32_e32 v2, s1
	v_add_co_u32_e32 v59, vcc, s0, v0
	v_addc_co_u32_e32 v60, vcc, v2, v1, vcc
	v_lshlrev_b64 v[0:1], 4, v[41:42]
	s_mul_i32 s14, s10, 25
	v_add_co_u32_e32 v43, vcc, v59, v0
	v_addc_co_u32_e32 v44, vcc, v60, v1, vcc
	v_add_u32_e32 v41, s14, v41
	v_lshlrev_b64 v[39:40], 4, v[41:42]
	v_add_u32_e32 v41, s14, v41
	s_waitcnt vmcnt(3)
	v_mul_f64 v[0:1], v[31:32], v[5:6]
	v_mul_f64 v[5:6], v[33:34], v[5:6]
	s_waitcnt vmcnt(2)
	v_mul_f64 v[45:46], v[19:20], v[9:10]
	s_waitcnt vmcnt(1)
	;; [unrolled: 2-line block ×3, first 2 shown]
	v_mul_f64 v[49:50], v[27:28], v[17:18]
	v_mul_f64 v[9:10], v[21:22], v[9:10]
	;; [unrolled: 1-line block ×4, first 2 shown]
	v_fma_f64 v[0:1], v[33:34], v[3:4], v[0:1]
	v_fma_f64 v[2:3], v[31:32], v[3:4], -v[5:6]
	v_fma_f64 v[4:5], v[21:22], v[7:8], v[45:46]
	v_fma_f64 v[21:22], v[25:26], v[11:12], v[47:48]
	;; [unrolled: 1-line block ×3, first 2 shown]
	v_fma_f64 v[6:7], v[19:20], v[7:8], -v[9:10]
	v_fma_f64 v[8:9], v[23:24], v[11:12], -v[13:14]
	;; [unrolled: 1-line block ×3, first 2 shown]
	v_add_co_u32_e32 v23, vcc, v59, v39
	v_add_f64 v[10:11], v[4:5], -v[0:1]
	v_addc_co_u32_e32 v24, vcc, v60, v40, vcc
	v_add_f64 v[12:13], v[21:22], -v[25:26]
	v_add_f64 v[19:20], v[0:1], v[25:26]
	v_add_f64 v[29:30], v[0:1], -v[4:5]
	v_add_f64 v[33:34], v[25:26], -v[21:22]
	v_add_f64 v[39:40], v[4:5], v[21:22]
	v_add_f64 v[45:46], v[37:38], v[0:1]
	;; [unrolled: 1-line block ×3, first 2 shown]
	v_add_f64 v[17:18], v[2:3], -v[15:16]
	v_add_f64 v[12:13], v[10:11], v[12:13]
	v_add_f64 v[10:11], v[6:7], v[8:9]
	v_add_f64 v[47:48], v[6:7], -v[2:3]
	v_add_f64 v[55:56], v[2:3], -v[6:7]
	v_add_f64 v[2:3], v[35:36], v[2:3]
	v_add_f64 v[27:28], v[6:7], -v[8:9]
	v_add_f64 v[51:52], v[4:5], -v[21:22]
	;; [unrolled: 1-line block ×3, first 2 shown]
	v_fma_f64 v[19:20], v[19:20], -0.5, v[37:38]
	v_add_f64 v[29:30], v[29:30], v[33:34]
	v_fma_f64 v[33:34], v[39:40], -0.5, v[37:38]
	v_add_f64 v[4:5], v[45:46], v[4:5]
	v_fma_f64 v[10:11], v[10:11], -0.5, v[35:36]
	v_add_f64 v[49:50], v[8:9], -v[15:16]
	v_fma_f64 v[39:40], v[53:54], -0.5, v[35:36]
	v_add_f64 v[2:3], v[2:3], v[6:7]
	v_add_f64 v[57:58], v[15:16], -v[8:9]
	v_fma_f64 v[6:7], v[27:28], s[16:17], v[19:20]
	v_fma_f64 v[19:20], v[27:28], s[6:7], v[19:20]
	;; [unrolled: 1-line block ×4, first 2 shown]
	v_add_f64 v[4:5], v[4:5], v[21:22]
	v_fma_f64 v[21:22], v[0:1], s[6:7], v[10:11]
	v_add_f64 v[37:38], v[47:48], v[49:50]
	v_fma_f64 v[47:48], v[51:52], s[6:7], v[39:40]
	v_fma_f64 v[39:40], v[51:52], s[16:17], v[39:40]
	v_add_f64 v[8:9], v[2:3], v[8:9]
	v_add_f64 v[35:36], v[55:56], v[57:58]
	v_fma_f64 v[49:50], v[17:18], s[18:19], v[6:7]
	v_fma_f64 v[17:18], v[17:18], s[22:23], v[19:20]
	;; [unrolled: 1-line block ×7, first 2 shown]
	v_add_f64 v[2:3], v[4:5], v[25:26]
	v_fma_f64 v[25:26], v[0:1], s[22:23], v[47:48]
	v_add_f64 v[0:1], v[8:9], v[15:16]
	v_fma_f64 v[6:7], v[29:30], s[26:27], v[6:7]
	v_fma_f64 v[4:5], v[35:36], s[26:27], v[19:20]
	;; [unrolled: 1-line block ×6, first 2 shown]
	v_lshlrev_b64 v[31:32], 4, v[41:42]
	v_fma_f64 v[8:9], v[37:38], s[26:27], v[25:26]
	global_store_dwordx4 v[43:44], v[0:3], off
	global_store_dwordx4 v[23:24], v[4:7], off
	v_add_co_u32_e32 v0, vcc, v59, v31
	v_addc_co_u32_e32 v1, vcc, v60, v32, vcc
	v_add_u32_e32 v41, s14, v41
	v_fma_f64 v[18:19], v[29:30], s[26:27], v[21:22]
	v_fma_f64 v[16:17], v[35:36], s[26:27], v[33:34]
	global_store_dwordx4 v[0:1], v[12:15], off
	v_lshlrev_b64 v[0:1], 4, v[41:42]
	v_add_u32_e32 v41, s14, v41
	v_add_co_u32_e32 v0, vcc, v59, v0
	v_addc_co_u32_e32 v1, vcc, v60, v1, vcc
	global_store_dwordx4 v[0:1], v[8:11], off
	v_lshlrev_b64 v[0:1], 4, v[41:42]
	v_add_co_u32_e32 v0, vcc, v59, v0
	v_addc_co_u32_e32 v1, vcc, v60, v1, vcc
	global_store_dwordx4 v[0:1], v[16:19], off
.LBB0_11:
	s_endpgm
	.section	.rodata,"a",@progbits
	.p2align	6, 0x0
	.amdhsa_kernel fft_rtc_fwd_len125_factors_5_5_5_wgs_250_tpt_25_dim3_dp_op_CI_CI_sbrc_unaligned_dirReg
		.amdhsa_group_segment_fixed_size 0
		.amdhsa_private_segment_fixed_size 0
		.amdhsa_kernarg_size 96
		.amdhsa_user_sgpr_count 6
		.amdhsa_user_sgpr_private_segment_buffer 1
		.amdhsa_user_sgpr_dispatch_ptr 0
		.amdhsa_user_sgpr_queue_ptr 0
		.amdhsa_user_sgpr_kernarg_segment_ptr 1
		.amdhsa_user_sgpr_dispatch_id 0
		.amdhsa_user_sgpr_flat_scratch_init 0
		.amdhsa_user_sgpr_private_segment_size 0
		.amdhsa_uses_dynamic_stack 0
		.amdhsa_system_sgpr_private_segment_wavefront_offset 0
		.amdhsa_system_sgpr_workgroup_id_x 1
		.amdhsa_system_sgpr_workgroup_id_y 0
		.amdhsa_system_sgpr_workgroup_id_z 0
		.amdhsa_system_sgpr_workgroup_info 0
		.amdhsa_system_vgpr_workitem_id 0
		.amdhsa_next_free_vgpr 61
		.amdhsa_next_free_sgpr 32
		.amdhsa_reserve_vcc 1
		.amdhsa_reserve_flat_scratch 0
		.amdhsa_float_round_mode_32 0
		.amdhsa_float_round_mode_16_64 0
		.amdhsa_float_denorm_mode_32 3
		.amdhsa_float_denorm_mode_16_64 3
		.amdhsa_dx10_clamp 1
		.amdhsa_ieee_mode 1
		.amdhsa_fp16_overflow 0
		.amdhsa_exception_fp_ieee_invalid_op 0
		.amdhsa_exception_fp_denorm_src 0
		.amdhsa_exception_fp_ieee_div_zero 0
		.amdhsa_exception_fp_ieee_overflow 0
		.amdhsa_exception_fp_ieee_underflow 0
		.amdhsa_exception_fp_ieee_inexact 0
		.amdhsa_exception_int_div_zero 0
	.end_amdhsa_kernel
	.text
.Lfunc_end0:
	.size	fft_rtc_fwd_len125_factors_5_5_5_wgs_250_tpt_25_dim3_dp_op_CI_CI_sbrc_unaligned_dirReg, .Lfunc_end0-fft_rtc_fwd_len125_factors_5_5_5_wgs_250_tpt_25_dim3_dp_op_CI_CI_sbrc_unaligned_dirReg
                                        ; -- End function
	.section	.AMDGPU.csdata,"",@progbits
; Kernel info:
; codeLenInByte = 3472
; NumSgprs: 36
; NumVgprs: 61
; ScratchSize: 0
; MemoryBound: 0
; FloatMode: 240
; IeeeMode: 1
; LDSByteSize: 0 bytes/workgroup (compile time only)
; SGPRBlocks: 4
; VGPRBlocks: 15
; NumSGPRsForWavesPerEU: 36
; NumVGPRsForWavesPerEU: 61
; Occupancy: 4
; WaveLimiterHint : 1
; COMPUTE_PGM_RSRC2:SCRATCH_EN: 0
; COMPUTE_PGM_RSRC2:USER_SGPR: 6
; COMPUTE_PGM_RSRC2:TRAP_HANDLER: 0
; COMPUTE_PGM_RSRC2:TGID_X_EN: 1
; COMPUTE_PGM_RSRC2:TGID_Y_EN: 0
; COMPUTE_PGM_RSRC2:TGID_Z_EN: 0
; COMPUTE_PGM_RSRC2:TIDIG_COMP_CNT: 0
	.type	__hip_cuid_d6b9783442be6c7f,@object ; @__hip_cuid_d6b9783442be6c7f
	.section	.bss,"aw",@nobits
	.globl	__hip_cuid_d6b9783442be6c7f
__hip_cuid_d6b9783442be6c7f:
	.byte	0                               ; 0x0
	.size	__hip_cuid_d6b9783442be6c7f, 1

	.ident	"AMD clang version 19.0.0git (https://github.com/RadeonOpenCompute/llvm-project roc-6.4.0 25133 c7fe45cf4b819c5991fe208aaa96edf142730f1d)"
	.section	".note.GNU-stack","",@progbits
	.addrsig
	.addrsig_sym __hip_cuid_d6b9783442be6c7f
	.amdgpu_metadata
---
amdhsa.kernels:
  - .args:
      - .actual_access:  read_only
        .address_space:  global
        .offset:         0
        .size:           8
        .value_kind:     global_buffer
      - .actual_access:  read_only
        .address_space:  global
        .offset:         8
        .size:           8
        .value_kind:     global_buffer
      - .actual_access:  read_only
        .address_space:  global
        .offset:         16
        .size:           8
        .value_kind:     global_buffer
      - .actual_access:  read_only
        .address_space:  global
        .offset:         24
        .size:           8
        .value_kind:     global_buffer
      - .offset:         32
        .size:           8
        .value_kind:     by_value
      - .actual_access:  read_only
        .address_space:  global
        .offset:         40
        .size:           8
        .value_kind:     global_buffer
      - .actual_access:  read_only
        .address_space:  global
        .offset:         48
        .size:           8
        .value_kind:     global_buffer
      - .offset:         56
        .size:           4
        .value_kind:     by_value
      - .actual_access:  read_only
        .address_space:  global
        .offset:         64
        .size:           8
        .value_kind:     global_buffer
      - .actual_access:  read_only
        .address_space:  global
        .offset:         72
        .size:           8
        .value_kind:     global_buffer
      - .actual_access:  read_only
        .address_space:  global
        .offset:         80
        .size:           8
        .value_kind:     global_buffer
      - .actual_access:  write_only
        .address_space:  global
        .offset:         88
        .size:           8
        .value_kind:     global_buffer
    .group_segment_fixed_size: 0
    .kernarg_segment_align: 8
    .kernarg_segment_size: 96
    .language:       OpenCL C
    .language_version:
      - 2
      - 0
    .max_flat_workgroup_size: 250
    .name:           fft_rtc_fwd_len125_factors_5_5_5_wgs_250_tpt_25_dim3_dp_op_CI_CI_sbrc_unaligned_dirReg
    .private_segment_fixed_size: 0
    .sgpr_count:     36
    .sgpr_spill_count: 0
    .symbol:         fft_rtc_fwd_len125_factors_5_5_5_wgs_250_tpt_25_dim3_dp_op_CI_CI_sbrc_unaligned_dirReg.kd
    .uniform_work_group_size: 1
    .uses_dynamic_stack: false
    .vgpr_count:     61
    .vgpr_spill_count: 0
    .wavefront_size: 64
amdhsa.target:   amdgcn-amd-amdhsa--gfx906
amdhsa.version:
  - 1
  - 2
...

	.end_amdgpu_metadata
